;; amdgpu-corpus repo=LLNL/RAJAPerf kind=compiled arch=gfx1250 opt=O3
	.amdgcn_target "amdgcn-amd-amdhsa--gfx1250"
	.amdhsa_code_object_version 6
	.section	.text._ZN4RAJA8internal22HipKernelLauncherFixedILi1024ENS0_8LoopDataIN4camp5tupleIJNS_4SpanINS_9Iterators16numeric_iteratorIiiPiEEiEESA_SA_EEENS4_IJEEENS3_9resources2v13HipEJZ4mainEUliiiE0_EEENS0_24HipStatementListExecutorISH_NS3_4listIJNS_9statement3ForILl2ENS_6policy3hip11hip_indexerINS_17iteration_mapping11StridedLoopILm0EEELNS_23kernel_sync_requirementE0EJNS_3hip11IndexGlobalILNS_9named_dimE2ELi0ELin1EEEEEEJNSL_ILl1ENSO_ISR_LSS_0EJNSU_ILSV_1ELi0ELin1EEEEEEJNSL_ILl0ENSO_ISR_LSS_0EJNSU_ILSV_0ELi0ELin1EEEEEEJNSK_6LambdaILl0EJEEEEEEEEEEEEEEENS0_9LoopTypesINSJ_IJvvvEEES19_EEEEEEvT0_,"axG",@progbits,_ZN4RAJA8internal22HipKernelLauncherFixedILi1024ENS0_8LoopDataIN4camp5tupleIJNS_4SpanINS_9Iterators16numeric_iteratorIiiPiEEiEESA_SA_EEENS4_IJEEENS3_9resources2v13HipEJZ4mainEUliiiE0_EEENS0_24HipStatementListExecutorISH_NS3_4listIJNS_9statement3ForILl2ENS_6policy3hip11hip_indexerINS_17iteration_mapping11StridedLoopILm0EEELNS_23kernel_sync_requirementE0EJNS_3hip11IndexGlobalILNS_9named_dimE2ELi0ELin1EEEEEEJNSL_ILl1ENSO_ISR_LSS_0EJNSU_ILSV_1ELi0ELin1EEEEEEJNSL_ILl0ENSO_ISR_LSS_0EJNSU_ILSV_0ELi0ELin1EEEEEEJNSK_6LambdaILl0EJEEEEEEEEEEEEEEENS0_9LoopTypesINSJ_IJvvvEEES19_EEEEEEvT0_,comdat
	.globl	_ZN4RAJA8internal22HipKernelLauncherFixedILi1024ENS0_8LoopDataIN4camp5tupleIJNS_4SpanINS_9Iterators16numeric_iteratorIiiPiEEiEESA_SA_EEENS4_IJEEENS3_9resources2v13HipEJZ4mainEUliiiE0_EEENS0_24HipStatementListExecutorISH_NS3_4listIJNS_9statement3ForILl2ENS_6policy3hip11hip_indexerINS_17iteration_mapping11StridedLoopILm0EEELNS_23kernel_sync_requirementE0EJNS_3hip11IndexGlobalILNS_9named_dimE2ELi0ELin1EEEEEEJNSL_ILl1ENSO_ISR_LSS_0EJNSU_ILSV_1ELi0ELin1EEEEEEJNSL_ILl0ENSO_ISR_LSS_0EJNSU_ILSV_0ELi0ELin1EEEEEEJNSK_6LambdaILl0EJEEEEEEEEEEEEEEENS0_9LoopTypesINSJ_IJvvvEEES19_EEEEEEvT0_ ; -- Begin function _ZN4RAJA8internal22HipKernelLauncherFixedILi1024ENS0_8LoopDataIN4camp5tupleIJNS_4SpanINS_9Iterators16numeric_iteratorIiiPiEEiEESA_SA_EEENS4_IJEEENS3_9resources2v13HipEJZ4mainEUliiiE0_EEENS0_24HipStatementListExecutorISH_NS3_4listIJNS_9statement3ForILl2ENS_6policy3hip11hip_indexerINS_17iteration_mapping11StridedLoopILm0EEELNS_23kernel_sync_requirementE0EJNS_3hip11IndexGlobalILNS_9named_dimE2ELi0ELin1EEEEEEJNSL_ILl1ENSO_ISR_LSS_0EJNSU_ILSV_1ELi0ELin1EEEEEEJNSL_ILl0ENSO_ISR_LSS_0EJNSU_ILSV_0ELi0ELin1EEEEEEJNSK_6LambdaILl0EJEEEEEEEEEEEEEEENS0_9LoopTypesINSJ_IJvvvEEES19_EEEEEEvT0_
	.p2align	8
	.type	_ZN4RAJA8internal22HipKernelLauncherFixedILi1024ENS0_8LoopDataIN4camp5tupleIJNS_4SpanINS_9Iterators16numeric_iteratorIiiPiEEiEESA_SA_EEENS4_IJEEENS3_9resources2v13HipEJZ4mainEUliiiE0_EEENS0_24HipStatementListExecutorISH_NS3_4listIJNS_9statement3ForILl2ENS_6policy3hip11hip_indexerINS_17iteration_mapping11StridedLoopILm0EEELNS_23kernel_sync_requirementE0EJNS_3hip11IndexGlobalILNS_9named_dimE2ELi0ELin1EEEEEEJNSL_ILl1ENSO_ISR_LSS_0EJNSU_ILSV_1ELi0ELin1EEEEEEJNSL_ILl0ENSO_ISR_LSS_0EJNSU_ILSV_0ELi0ELin1EEEEEEJNSK_6LambdaILl0EJEEEEEEEEEEEEEEENS0_9LoopTypesINSJ_IJvvvEEES19_EEEEEEvT0_,@function
_ZN4RAJA8internal22HipKernelLauncherFixedILi1024ENS0_8LoopDataIN4camp5tupleIJNS_4SpanINS_9Iterators16numeric_iteratorIiiPiEEiEESA_SA_EEENS4_IJEEENS3_9resources2v13HipEJZ4mainEUliiiE0_EEENS0_24HipStatementListExecutorISH_NS3_4listIJNS_9statement3ForILl2ENS_6policy3hip11hip_indexerINS_17iteration_mapping11StridedLoopILm0EEELNS_23kernel_sync_requirementE0EJNS_3hip11IndexGlobalILNS_9named_dimE2ELi0ELin1EEEEEEJNSL_ILl1ENSO_ISR_LSS_0EJNSU_ILSV_1ELi0ELin1EEEEEEJNSL_ILl0ENSO_ISR_LSS_0EJNSU_ILSV_0ELi0ELin1EEEEEEJNSK_6LambdaILl0EJEEEEEEEEEEEEEEENS0_9LoopTypesINSJ_IJvvvEEES19_EEEEEEvT0_: ; @_ZN4RAJA8internal22HipKernelLauncherFixedILi1024ENS0_8LoopDataIN4camp5tupleIJNS_4SpanINS_9Iterators16numeric_iteratorIiiPiEEiEESA_SA_EEENS4_IJEEENS3_9resources2v13HipEJZ4mainEUliiiE0_EEENS0_24HipStatementListExecutorISH_NS3_4listIJNS_9statement3ForILl2ENS_6policy3hip11hip_indexerINS_17iteration_mapping11StridedLoopILm0EEELNS_23kernel_sync_requirementE0EJNS_3hip11IndexGlobalILNS_9named_dimE2ELi0ELin1EEEEEEJNSL_ILl1ENSO_ISR_LSS_0EJNSU_ILSV_1ELi0ELin1EEEEEEJNSL_ILl0ENSO_ISR_LSS_0EJNSU_ILSV_0ELi0ELin1EEEEEEJNSK_6LambdaILl0EJEEEEEEEEEEEEEEENS0_9LoopTypesINSJ_IJvvvEEES19_EEEEEEvT0_
; %bb.0:
	s_load_b64 s[2:3], s[0:1], 0x10
	v_bfe_u32 v4, v0, 20, 10
	s_mov_b32 s4, exec_lo
	s_wait_kmcnt 0x0
	s_sub_co_i32 s3, s3, s2
	s_delay_alu instid0(VALU_DEP_1) | instid1(SALU_CYCLE_1)
	v_cmpx_gt_i32_e64 s3, v4
	s_cbranch_execz .LBB0_9
; %bb.1:
	s_clause 0x1
	s_load_b128 s[4:7], s[0:1], 0x0
	s_load_b96 s[8:10], s[0:1], 0x44
	v_bfe_u32 v5, v0, 10, 10
	s_clause 0x1
	s_load_u16 s11, s[0:1], 0x8e
	s_load_b32 s16, s[0:1], 0x90
	v_and_b32_e32 v6, 0x3ff, v0
	s_load_b64 s[12:13], s[0:1], 0x30
	s_add_nc_u64 s[14:15], s[0:1], 0x80
	s_mov_b32 s17, 0
	s_wait_kmcnt 0x0
	v_dual_add_nc_u32 v2, s2, v4 :: v_dual_add_nc_u32 v1, s6, v5
	v_add_nc_u32_e32 v0, s4, v6
	s_sub_co_i32 s5, s5, s4
	s_and_b32 s16, s16, 0xffff
	v_cmp_gt_i32_e64 s0, s5, v6
	v_mul_lo_u32 v1, s9, v1
	s_sub_co_i32 s7, s7, s6
	s_mul_i32 s9, s9, s11
	v_cmp_gt_i32_e32 vcc_lo, s7, v5
	s_delay_alu instid0(VALU_DEP_2) | instskip(SKIP_1) | instid1(VALU_DEP_1)
	v_mad_u32 v1, s10, v2, v1
	s_mul_i32 s10, s10, s16
	v_mad_u32 v7, s8, v0, v1
	s_branch .LBB0_3
.LBB0_2:                                ;   in Loop: Header=BB0_3 Depth=1
	s_or_b32 exec_lo, exec_lo, s18
	s_delay_alu instid0(VALU_DEP_1) | instskip(NEXT) | instid1(VALU_DEP_1)
	v_dual_add_nc_u32 v4, s16, v4 :: v_dual_add_nc_u32 v7, s10, v7
	v_cmp_le_i32_e64 s1, s3, v4
	s_or_b32 s17, s1, s17
	s_delay_alu instid0(SALU_CYCLE_1)
	s_and_not1_b32 exec_lo, exec_lo, s17
	s_cbranch_execz .LBB0_9
.LBB0_3:                                ; =>This Loop Header: Depth=1
                                        ;     Child Loop BB0_6 Depth 2
                                        ;       Child Loop BB0_8 Depth 3
	s_and_saveexec_b32 s18, vcc_lo
	s_cbranch_execz .LBB0_2
; %bb.4:                                ;   in Loop: Header=BB0_3 Depth=1
	s_delay_alu instid0(VALU_DEP_1) | instskip(SKIP_3) | instid1(VALU_DEP_2)
	v_dual_add_nc_u32 v0, s2, v4 :: v_dual_mov_b32 v8, v7
	s_load_b32 s1, s[14:15], 0xc
	v_mov_b32_e32 v9, v5
	s_mov_b32 s21, 0
	v_cvt_f64_i32_e32 v[0:1], v0
	s_wait_kmcnt 0x0
	s_and_b32 s19, s1, 0xffff
	s_delay_alu instid0(SALU_CYCLE_1)
	s_mul_i32 s20, s8, s19
	s_branch .LBB0_6
.LBB0_5:                                ;   in Loop: Header=BB0_6 Depth=2
	s_or_b32 exec_lo, exec_lo, s22
	v_dual_add_nc_u32 v9, s11, v9 :: v_dual_add_nc_u32 v8, s9, v8
	s_delay_alu instid0(VALU_DEP_1) | instskip(SKIP_1) | instid1(SALU_CYCLE_1)
	v_cmp_le_i32_e64 s1, s7, v9
	s_or_b32 s21, s1, s21
	s_and_not1_b32 exec_lo, exec_lo, s21
	s_cbranch_execz .LBB0_2
.LBB0_6:                                ;   Parent Loop BB0_3 Depth=1
                                        ; =>  This Loop Header: Depth=2
                                        ;       Child Loop BB0_8 Depth 3
	s_and_saveexec_b32 s22, s0
	s_cbranch_execz .LBB0_5
; %bb.7:                                ;   in Loop: Header=BB0_6 Depth=2
	v_dual_add_nc_u32 v2, s6, v9 :: v_dual_mov_b32 v10, v8
	v_mov_b32_e32 v11, v6
	s_mov_b32 s23, 0
	s_delay_alu instid0(VALU_DEP_2)
	v_cvt_f64_i32_e32 v[2:3], v2
.LBB0_8:                                ;   Parent Loop BB0_3 Depth=1
                                        ;     Parent Loop BB0_6 Depth=2
                                        ; =>    This Inner Loop Header: Depth=3
	s_delay_alu instid0(VALU_DEP_2) | instskip(NEXT) | instid1(VALU_DEP_1)
	v_dual_add_nc_u32 v12, s4, v11 :: v_dual_add_nc_u32 v11, s19, v11
	v_cvt_f64_i32_e32 v[12:13], v12
	s_delay_alu instid0(VALU_DEP_2) | instskip(SKIP_2) | instid1(VALU_DEP_1)
	v_cmp_le_i32_e64 s1, s5, v11
	s_or_b32 s23, s1, s23
	v_mul_f64_e32 v[12:13], 0x3f1a36e2eb1c432d, v[12:13]
	v_mul_f64_e32 v[12:13], v[12:13], v[2:3]
	s_delay_alu instid0(VALU_DEP_1)
	v_mul_f64_e32 v[12:13], v[12:13], v[0:1]
	global_store_b64 v10, v[12:13], s[12:13] scale_offset
	s_wait_xcnt 0x0
	v_add_nc_u32_e32 v10, s20, v10
	s_and_not1_b32 exec_lo, exec_lo, s23
	s_cbranch_execnz .LBB0_8
	s_branch .LBB0_5
.LBB0_9:
	s_endpgm
	.section	.rodata,"a",@progbits
	.p2align	6, 0x0
	.amdhsa_kernel _ZN4RAJA8internal22HipKernelLauncherFixedILi1024ENS0_8LoopDataIN4camp5tupleIJNS_4SpanINS_9Iterators16numeric_iteratorIiiPiEEiEESA_SA_EEENS4_IJEEENS3_9resources2v13HipEJZ4mainEUliiiE0_EEENS0_24HipStatementListExecutorISH_NS3_4listIJNS_9statement3ForILl2ENS_6policy3hip11hip_indexerINS_17iteration_mapping11StridedLoopILm0EEELNS_23kernel_sync_requirementE0EJNS_3hip11IndexGlobalILNS_9named_dimE2ELi0ELin1EEEEEEJNSL_ILl1ENSO_ISR_LSS_0EJNSU_ILSV_1ELi0ELin1EEEEEEJNSL_ILl0ENSO_ISR_LSS_0EJNSU_ILSV_0ELi0ELin1EEEEEEJNSK_6LambdaILl0EJEEEEEEEEEEEEEEENS0_9LoopTypesINSJ_IJvvvEEES19_EEEEEEvT0_
		.amdhsa_group_segment_fixed_size 0
		.amdhsa_private_segment_fixed_size 0
		.amdhsa_kernarg_size 384
		.amdhsa_user_sgpr_count 2
		.amdhsa_user_sgpr_dispatch_ptr 0
		.amdhsa_user_sgpr_queue_ptr 0
		.amdhsa_user_sgpr_kernarg_segment_ptr 1
		.amdhsa_user_sgpr_dispatch_id 0
		.amdhsa_user_sgpr_kernarg_preload_length 0
		.amdhsa_user_sgpr_kernarg_preload_offset 0
		.amdhsa_user_sgpr_private_segment_size 0
		.amdhsa_wavefront_size32 1
		.amdhsa_uses_dynamic_stack 0
		.amdhsa_enable_private_segment 0
		.amdhsa_system_sgpr_workgroup_id_x 1
		.amdhsa_system_sgpr_workgroup_id_y 0
		.amdhsa_system_sgpr_workgroup_id_z 0
		.amdhsa_system_sgpr_workgroup_info 0
		.amdhsa_system_vgpr_workitem_id 2
		.amdhsa_next_free_vgpr 14
		.amdhsa_next_free_sgpr 24
		.amdhsa_named_barrier_count 0
		.amdhsa_reserve_vcc 1
		.amdhsa_float_round_mode_32 0
		.amdhsa_float_round_mode_16_64 0
		.amdhsa_float_denorm_mode_32 3
		.amdhsa_float_denorm_mode_16_64 3
		.amdhsa_fp16_overflow 0
		.amdhsa_memory_ordered 1
		.amdhsa_forward_progress 1
		.amdhsa_inst_pref_size 4
		.amdhsa_round_robin_scheduling 0
		.amdhsa_exception_fp_ieee_invalid_op 0
		.amdhsa_exception_fp_denorm_src 0
		.amdhsa_exception_fp_ieee_div_zero 0
		.amdhsa_exception_fp_ieee_overflow 0
		.amdhsa_exception_fp_ieee_underflow 0
		.amdhsa_exception_fp_ieee_inexact 0
		.amdhsa_exception_int_div_zero 0
	.end_amdhsa_kernel
	.section	.text._ZN4RAJA8internal22HipKernelLauncherFixedILi1024ENS0_8LoopDataIN4camp5tupleIJNS_4SpanINS_9Iterators16numeric_iteratorIiiPiEEiEESA_SA_EEENS4_IJEEENS3_9resources2v13HipEJZ4mainEUliiiE0_EEENS0_24HipStatementListExecutorISH_NS3_4listIJNS_9statement3ForILl2ENS_6policy3hip11hip_indexerINS_17iteration_mapping11StridedLoopILm0EEELNS_23kernel_sync_requirementE0EJNS_3hip11IndexGlobalILNS_9named_dimE2ELi0ELin1EEEEEEJNSL_ILl1ENSO_ISR_LSS_0EJNSU_ILSV_1ELi0ELin1EEEEEEJNSL_ILl0ENSO_ISR_LSS_0EJNSU_ILSV_0ELi0ELin1EEEEEEJNSK_6LambdaILl0EJEEEEEEEEEEEEEEENS0_9LoopTypesINSJ_IJvvvEEES19_EEEEEEvT0_,"axG",@progbits,_ZN4RAJA8internal22HipKernelLauncherFixedILi1024ENS0_8LoopDataIN4camp5tupleIJNS_4SpanINS_9Iterators16numeric_iteratorIiiPiEEiEESA_SA_EEENS4_IJEEENS3_9resources2v13HipEJZ4mainEUliiiE0_EEENS0_24HipStatementListExecutorISH_NS3_4listIJNS_9statement3ForILl2ENS_6policy3hip11hip_indexerINS_17iteration_mapping11StridedLoopILm0EEELNS_23kernel_sync_requirementE0EJNS_3hip11IndexGlobalILNS_9named_dimE2ELi0ELin1EEEEEEJNSL_ILl1ENSO_ISR_LSS_0EJNSU_ILSV_1ELi0ELin1EEEEEEJNSL_ILl0ENSO_ISR_LSS_0EJNSU_ILSV_0ELi0ELin1EEEEEEJNSK_6LambdaILl0EJEEEEEEEEEEEEEEENS0_9LoopTypesINSJ_IJvvvEEES19_EEEEEEvT0_,comdat
.Lfunc_end0:
	.size	_ZN4RAJA8internal22HipKernelLauncherFixedILi1024ENS0_8LoopDataIN4camp5tupleIJNS_4SpanINS_9Iterators16numeric_iteratorIiiPiEEiEESA_SA_EEENS4_IJEEENS3_9resources2v13HipEJZ4mainEUliiiE0_EEENS0_24HipStatementListExecutorISH_NS3_4listIJNS_9statement3ForILl2ENS_6policy3hip11hip_indexerINS_17iteration_mapping11StridedLoopILm0EEELNS_23kernel_sync_requirementE0EJNS_3hip11IndexGlobalILNS_9named_dimE2ELi0ELin1EEEEEEJNSL_ILl1ENSO_ISR_LSS_0EJNSU_ILSV_1ELi0ELin1EEEEEEJNSL_ILl0ENSO_ISR_LSS_0EJNSU_ILSV_0ELi0ELin1EEEEEEJNSK_6LambdaILl0EJEEEEEEEEEEEEEEENS0_9LoopTypesINSJ_IJvvvEEES19_EEEEEEvT0_, .Lfunc_end0-_ZN4RAJA8internal22HipKernelLauncherFixedILi1024ENS0_8LoopDataIN4camp5tupleIJNS_4SpanINS_9Iterators16numeric_iteratorIiiPiEEiEESA_SA_EEENS4_IJEEENS3_9resources2v13HipEJZ4mainEUliiiE0_EEENS0_24HipStatementListExecutorISH_NS3_4listIJNS_9statement3ForILl2ENS_6policy3hip11hip_indexerINS_17iteration_mapping11StridedLoopILm0EEELNS_23kernel_sync_requirementE0EJNS_3hip11IndexGlobalILNS_9named_dimE2ELi0ELin1EEEEEEJNSL_ILl1ENSO_ISR_LSS_0EJNSU_ILSV_1ELi0ELin1EEEEEEJNSL_ILl0ENSO_ISR_LSS_0EJNSU_ILSV_0ELi0ELin1EEEEEEJNSK_6LambdaILl0EJEEEEEEEEEEEEEEENS0_9LoopTypesINSJ_IJvvvEEES19_EEEEEEvT0_
                                        ; -- End function
	.set _ZN4RAJA8internal22HipKernelLauncherFixedILi1024ENS0_8LoopDataIN4camp5tupleIJNS_4SpanINS_9Iterators16numeric_iteratorIiiPiEEiEESA_SA_EEENS4_IJEEENS3_9resources2v13HipEJZ4mainEUliiiE0_EEENS0_24HipStatementListExecutorISH_NS3_4listIJNS_9statement3ForILl2ENS_6policy3hip11hip_indexerINS_17iteration_mapping11StridedLoopILm0EEELNS_23kernel_sync_requirementE0EJNS_3hip11IndexGlobalILNS_9named_dimE2ELi0ELin1EEEEEEJNSL_ILl1ENSO_ISR_LSS_0EJNSU_ILSV_1ELi0ELin1EEEEEEJNSL_ILl0ENSO_ISR_LSS_0EJNSU_ILSV_0ELi0ELin1EEEEEEJNSK_6LambdaILl0EJEEEEEEEEEEEEEEENS0_9LoopTypesINSJ_IJvvvEEES19_EEEEEEvT0_.num_vgpr, 14
	.set _ZN4RAJA8internal22HipKernelLauncherFixedILi1024ENS0_8LoopDataIN4camp5tupleIJNS_4SpanINS_9Iterators16numeric_iteratorIiiPiEEiEESA_SA_EEENS4_IJEEENS3_9resources2v13HipEJZ4mainEUliiiE0_EEENS0_24HipStatementListExecutorISH_NS3_4listIJNS_9statement3ForILl2ENS_6policy3hip11hip_indexerINS_17iteration_mapping11StridedLoopILm0EEELNS_23kernel_sync_requirementE0EJNS_3hip11IndexGlobalILNS_9named_dimE2ELi0ELin1EEEEEEJNSL_ILl1ENSO_ISR_LSS_0EJNSU_ILSV_1ELi0ELin1EEEEEEJNSL_ILl0ENSO_ISR_LSS_0EJNSU_ILSV_0ELi0ELin1EEEEEEJNSK_6LambdaILl0EJEEEEEEEEEEEEEEENS0_9LoopTypesINSJ_IJvvvEEES19_EEEEEEvT0_.num_agpr, 0
	.set _ZN4RAJA8internal22HipKernelLauncherFixedILi1024ENS0_8LoopDataIN4camp5tupleIJNS_4SpanINS_9Iterators16numeric_iteratorIiiPiEEiEESA_SA_EEENS4_IJEEENS3_9resources2v13HipEJZ4mainEUliiiE0_EEENS0_24HipStatementListExecutorISH_NS3_4listIJNS_9statement3ForILl2ENS_6policy3hip11hip_indexerINS_17iteration_mapping11StridedLoopILm0EEELNS_23kernel_sync_requirementE0EJNS_3hip11IndexGlobalILNS_9named_dimE2ELi0ELin1EEEEEEJNSL_ILl1ENSO_ISR_LSS_0EJNSU_ILSV_1ELi0ELin1EEEEEEJNSL_ILl0ENSO_ISR_LSS_0EJNSU_ILSV_0ELi0ELin1EEEEEEJNSK_6LambdaILl0EJEEEEEEEEEEEEEEENS0_9LoopTypesINSJ_IJvvvEEES19_EEEEEEvT0_.numbered_sgpr, 24
	.set _ZN4RAJA8internal22HipKernelLauncherFixedILi1024ENS0_8LoopDataIN4camp5tupleIJNS_4SpanINS_9Iterators16numeric_iteratorIiiPiEEiEESA_SA_EEENS4_IJEEENS3_9resources2v13HipEJZ4mainEUliiiE0_EEENS0_24HipStatementListExecutorISH_NS3_4listIJNS_9statement3ForILl2ENS_6policy3hip11hip_indexerINS_17iteration_mapping11StridedLoopILm0EEELNS_23kernel_sync_requirementE0EJNS_3hip11IndexGlobalILNS_9named_dimE2ELi0ELin1EEEEEEJNSL_ILl1ENSO_ISR_LSS_0EJNSU_ILSV_1ELi0ELin1EEEEEEJNSL_ILl0ENSO_ISR_LSS_0EJNSU_ILSV_0ELi0ELin1EEEEEEJNSK_6LambdaILl0EJEEEEEEEEEEEEEEENS0_9LoopTypesINSJ_IJvvvEEES19_EEEEEEvT0_.num_named_barrier, 0
	.set _ZN4RAJA8internal22HipKernelLauncherFixedILi1024ENS0_8LoopDataIN4camp5tupleIJNS_4SpanINS_9Iterators16numeric_iteratorIiiPiEEiEESA_SA_EEENS4_IJEEENS3_9resources2v13HipEJZ4mainEUliiiE0_EEENS0_24HipStatementListExecutorISH_NS3_4listIJNS_9statement3ForILl2ENS_6policy3hip11hip_indexerINS_17iteration_mapping11StridedLoopILm0EEELNS_23kernel_sync_requirementE0EJNS_3hip11IndexGlobalILNS_9named_dimE2ELi0ELin1EEEEEEJNSL_ILl1ENSO_ISR_LSS_0EJNSU_ILSV_1ELi0ELin1EEEEEEJNSL_ILl0ENSO_ISR_LSS_0EJNSU_ILSV_0ELi0ELin1EEEEEEJNSK_6LambdaILl0EJEEEEEEEEEEEEEEENS0_9LoopTypesINSJ_IJvvvEEES19_EEEEEEvT0_.private_seg_size, 0
	.set _ZN4RAJA8internal22HipKernelLauncherFixedILi1024ENS0_8LoopDataIN4camp5tupleIJNS_4SpanINS_9Iterators16numeric_iteratorIiiPiEEiEESA_SA_EEENS4_IJEEENS3_9resources2v13HipEJZ4mainEUliiiE0_EEENS0_24HipStatementListExecutorISH_NS3_4listIJNS_9statement3ForILl2ENS_6policy3hip11hip_indexerINS_17iteration_mapping11StridedLoopILm0EEELNS_23kernel_sync_requirementE0EJNS_3hip11IndexGlobalILNS_9named_dimE2ELi0ELin1EEEEEEJNSL_ILl1ENSO_ISR_LSS_0EJNSU_ILSV_1ELi0ELin1EEEEEEJNSL_ILl0ENSO_ISR_LSS_0EJNSU_ILSV_0ELi0ELin1EEEEEEJNSK_6LambdaILl0EJEEEEEEEEEEEEEEENS0_9LoopTypesINSJ_IJvvvEEES19_EEEEEEvT0_.uses_vcc, 1
	.set _ZN4RAJA8internal22HipKernelLauncherFixedILi1024ENS0_8LoopDataIN4camp5tupleIJNS_4SpanINS_9Iterators16numeric_iteratorIiiPiEEiEESA_SA_EEENS4_IJEEENS3_9resources2v13HipEJZ4mainEUliiiE0_EEENS0_24HipStatementListExecutorISH_NS3_4listIJNS_9statement3ForILl2ENS_6policy3hip11hip_indexerINS_17iteration_mapping11StridedLoopILm0EEELNS_23kernel_sync_requirementE0EJNS_3hip11IndexGlobalILNS_9named_dimE2ELi0ELin1EEEEEEJNSL_ILl1ENSO_ISR_LSS_0EJNSU_ILSV_1ELi0ELin1EEEEEEJNSL_ILl0ENSO_ISR_LSS_0EJNSU_ILSV_0ELi0ELin1EEEEEEJNSK_6LambdaILl0EJEEEEEEEEEEEEEEENS0_9LoopTypesINSJ_IJvvvEEES19_EEEEEEvT0_.uses_flat_scratch, 0
	.set _ZN4RAJA8internal22HipKernelLauncherFixedILi1024ENS0_8LoopDataIN4camp5tupleIJNS_4SpanINS_9Iterators16numeric_iteratorIiiPiEEiEESA_SA_EEENS4_IJEEENS3_9resources2v13HipEJZ4mainEUliiiE0_EEENS0_24HipStatementListExecutorISH_NS3_4listIJNS_9statement3ForILl2ENS_6policy3hip11hip_indexerINS_17iteration_mapping11StridedLoopILm0EEELNS_23kernel_sync_requirementE0EJNS_3hip11IndexGlobalILNS_9named_dimE2ELi0ELin1EEEEEEJNSL_ILl1ENSO_ISR_LSS_0EJNSU_ILSV_1ELi0ELin1EEEEEEJNSL_ILl0ENSO_ISR_LSS_0EJNSU_ILSV_0ELi0ELin1EEEEEEJNSK_6LambdaILl0EJEEEEEEEEEEEEEEENS0_9LoopTypesINSJ_IJvvvEEES19_EEEEEEvT0_.has_dyn_sized_stack, 0
	.set _ZN4RAJA8internal22HipKernelLauncherFixedILi1024ENS0_8LoopDataIN4camp5tupleIJNS_4SpanINS_9Iterators16numeric_iteratorIiiPiEEiEESA_SA_EEENS4_IJEEENS3_9resources2v13HipEJZ4mainEUliiiE0_EEENS0_24HipStatementListExecutorISH_NS3_4listIJNS_9statement3ForILl2ENS_6policy3hip11hip_indexerINS_17iteration_mapping11StridedLoopILm0EEELNS_23kernel_sync_requirementE0EJNS_3hip11IndexGlobalILNS_9named_dimE2ELi0ELin1EEEEEEJNSL_ILl1ENSO_ISR_LSS_0EJNSU_ILSV_1ELi0ELin1EEEEEEJNSL_ILl0ENSO_ISR_LSS_0EJNSU_ILSV_0ELi0ELin1EEEEEEJNSK_6LambdaILl0EJEEEEEEEEEEEEEEENS0_9LoopTypesINSJ_IJvvvEEES19_EEEEEEvT0_.has_recursion, 0
	.set _ZN4RAJA8internal22HipKernelLauncherFixedILi1024ENS0_8LoopDataIN4camp5tupleIJNS_4SpanINS_9Iterators16numeric_iteratorIiiPiEEiEESA_SA_EEENS4_IJEEENS3_9resources2v13HipEJZ4mainEUliiiE0_EEENS0_24HipStatementListExecutorISH_NS3_4listIJNS_9statement3ForILl2ENS_6policy3hip11hip_indexerINS_17iteration_mapping11StridedLoopILm0EEELNS_23kernel_sync_requirementE0EJNS_3hip11IndexGlobalILNS_9named_dimE2ELi0ELin1EEEEEEJNSL_ILl1ENSO_ISR_LSS_0EJNSU_ILSV_1ELi0ELin1EEEEEEJNSL_ILl0ENSO_ISR_LSS_0EJNSU_ILSV_0ELi0ELin1EEEEEEJNSK_6LambdaILl0EJEEEEEEEEEEEEEEENS0_9LoopTypesINSJ_IJvvvEEES19_EEEEEEvT0_.has_indirect_call, 0
	.section	.AMDGPU.csdata,"",@progbits
; Kernel info:
; codeLenInByte = 492
; TotalNumSgprs: 26
; NumVgprs: 14
; ScratchSize: 0
; MemoryBound: 0
; FloatMode: 240
; IeeeMode: 1
; LDSByteSize: 0 bytes/workgroup (compile time only)
; SGPRBlocks: 0
; VGPRBlocks: 0
; NumSGPRsForWavesPerEU: 26
; NumVGPRsForWavesPerEU: 14
; NamedBarCnt: 0
; Occupancy: 16
; WaveLimiterHint : 0
; COMPUTE_PGM_RSRC2:SCRATCH_EN: 0
; COMPUTE_PGM_RSRC2:USER_SGPR: 2
; COMPUTE_PGM_RSRC2:TRAP_HANDLER: 0
; COMPUTE_PGM_RSRC2:TGID_X_EN: 1
; COMPUTE_PGM_RSRC2:TGID_Y_EN: 0
; COMPUTE_PGM_RSRC2:TGID_Z_EN: 0
; COMPUTE_PGM_RSRC2:TIDIG_COMP_CNT: 2
	.section	.text._ZN4RAJA8internal22HipKernelLauncherFixedILi256ENS0_8LoopDataIN4camp5tupleIJNS_4SpanINS_9Iterators16numeric_iteratorIiiPiEEiEESA_SA_EEENS4_IJEEENS3_9resources2v13HipEJZ4mainEUliiiE1_EEENS0_24HipStatementListExecutorISH_NS3_4listIJNS_9statement4TileILl1ENS_10tile_fixedILl8EEENS_6policy3hip11hip_indexerINS_17iteration_mapping6DirectELNS_23kernel_sync_requirementE0EJNS_3hip11IndexGlobalILNS_9named_dimE1ELin1ELi0EEEEEEJNSL_ILl0ENSM_ILl32EEENSQ_ISS_LST_0EJNSV_ILSW_0ELin1ELi0EEEEEEJNSK_3ForILl2ENSQ_ISS_LST_0EJNSV_ILSW_2ELin1ELi0EEEEEEJNS12_ILl1ENSQ_ISS_LST_0EJNSV_ILSW_1ELi0ELin1EEEEEEJNS12_ILl0ENSQ_ISS_LST_0EJNSV_ILSW_0ELi0ELin1EEEEEEJNSK_6LambdaILl0EJEEEEEEEEEEEEEEEEEEEEENS0_9LoopTypesINSJ_IJvvvEEES1I_EEEEEEvT0_,"axG",@progbits,_ZN4RAJA8internal22HipKernelLauncherFixedILi256ENS0_8LoopDataIN4camp5tupleIJNS_4SpanINS_9Iterators16numeric_iteratorIiiPiEEiEESA_SA_EEENS4_IJEEENS3_9resources2v13HipEJZ4mainEUliiiE1_EEENS0_24HipStatementListExecutorISH_NS3_4listIJNS_9statement4TileILl1ENS_10tile_fixedILl8EEENS_6policy3hip11hip_indexerINS_17iteration_mapping6DirectELNS_23kernel_sync_requirementE0EJNS_3hip11IndexGlobalILNS_9named_dimE1ELin1ELi0EEEEEEJNSL_ILl0ENSM_ILl32EEENSQ_ISS_LST_0EJNSV_ILSW_0ELin1ELi0EEEEEEJNSK_3ForILl2ENSQ_ISS_LST_0EJNSV_ILSW_2ELin1ELi0EEEEEEJNS12_ILl1ENSQ_ISS_LST_0EJNSV_ILSW_1ELi0ELin1EEEEEEJNS12_ILl0ENSQ_ISS_LST_0EJNSV_ILSW_0ELi0ELin1EEEEEEJNSK_6LambdaILl0EJEEEEEEEEEEEEEEEEEEEEENS0_9LoopTypesINSJ_IJvvvEEES1I_EEEEEEvT0_,comdat
	.globl	_ZN4RAJA8internal22HipKernelLauncherFixedILi256ENS0_8LoopDataIN4camp5tupleIJNS_4SpanINS_9Iterators16numeric_iteratorIiiPiEEiEESA_SA_EEENS4_IJEEENS3_9resources2v13HipEJZ4mainEUliiiE1_EEENS0_24HipStatementListExecutorISH_NS3_4listIJNS_9statement4TileILl1ENS_10tile_fixedILl8EEENS_6policy3hip11hip_indexerINS_17iteration_mapping6DirectELNS_23kernel_sync_requirementE0EJNS_3hip11IndexGlobalILNS_9named_dimE1ELin1ELi0EEEEEEJNSL_ILl0ENSM_ILl32EEENSQ_ISS_LST_0EJNSV_ILSW_0ELin1ELi0EEEEEEJNSK_3ForILl2ENSQ_ISS_LST_0EJNSV_ILSW_2ELin1ELi0EEEEEEJNS12_ILl1ENSQ_ISS_LST_0EJNSV_ILSW_1ELi0ELin1EEEEEEJNS12_ILl0ENSQ_ISS_LST_0EJNSV_ILSW_0ELi0ELin1EEEEEEJNSK_6LambdaILl0EJEEEEEEEEEEEEEEEEEEEEENS0_9LoopTypesINSJ_IJvvvEEES1I_EEEEEEvT0_ ; -- Begin function _ZN4RAJA8internal22HipKernelLauncherFixedILi256ENS0_8LoopDataIN4camp5tupleIJNS_4SpanINS_9Iterators16numeric_iteratorIiiPiEEiEESA_SA_EEENS4_IJEEENS3_9resources2v13HipEJZ4mainEUliiiE1_EEENS0_24HipStatementListExecutorISH_NS3_4listIJNS_9statement4TileILl1ENS_10tile_fixedILl8EEENS_6policy3hip11hip_indexerINS_17iteration_mapping6DirectELNS_23kernel_sync_requirementE0EJNS_3hip11IndexGlobalILNS_9named_dimE1ELin1ELi0EEEEEEJNSL_ILl0ENSM_ILl32EEENSQ_ISS_LST_0EJNSV_ILSW_0ELin1ELi0EEEEEEJNSK_3ForILl2ENSQ_ISS_LST_0EJNSV_ILSW_2ELin1ELi0EEEEEEJNS12_ILl1ENSQ_ISS_LST_0EJNSV_ILSW_1ELi0ELin1EEEEEEJNS12_ILl0ENSQ_ISS_LST_0EJNSV_ILSW_0ELi0ELin1EEEEEEJNSK_6LambdaILl0EJEEEEEEEEEEEEEEEEEEEEENS0_9LoopTypesINSJ_IJvvvEEES1I_EEEEEEvT0_
	.p2align	8
	.type	_ZN4RAJA8internal22HipKernelLauncherFixedILi256ENS0_8LoopDataIN4camp5tupleIJNS_4SpanINS_9Iterators16numeric_iteratorIiiPiEEiEESA_SA_EEENS4_IJEEENS3_9resources2v13HipEJZ4mainEUliiiE1_EEENS0_24HipStatementListExecutorISH_NS3_4listIJNS_9statement4TileILl1ENS_10tile_fixedILl8EEENS_6policy3hip11hip_indexerINS_17iteration_mapping6DirectELNS_23kernel_sync_requirementE0EJNS_3hip11IndexGlobalILNS_9named_dimE1ELin1ELi0EEEEEEJNSL_ILl0ENSM_ILl32EEENSQ_ISS_LST_0EJNSV_ILSW_0ELin1ELi0EEEEEEJNSK_3ForILl2ENSQ_ISS_LST_0EJNSV_ILSW_2ELin1ELi0EEEEEEJNS12_ILl1ENSQ_ISS_LST_0EJNSV_ILSW_1ELi0ELin1EEEEEEJNS12_ILl0ENSQ_ISS_LST_0EJNSV_ILSW_0ELi0ELin1EEEEEEJNSK_6LambdaILl0EJEEEEEEEEEEEEEEEEEEEEENS0_9LoopTypesINSJ_IJvvvEEES1I_EEEEEEvT0_,@function
_ZN4RAJA8internal22HipKernelLauncherFixedILi256ENS0_8LoopDataIN4camp5tupleIJNS_4SpanINS_9Iterators16numeric_iteratorIiiPiEEiEESA_SA_EEENS4_IJEEENS3_9resources2v13HipEJZ4mainEUliiiE1_EEENS0_24HipStatementListExecutorISH_NS3_4listIJNS_9statement4TileILl1ENS_10tile_fixedILl8EEENS_6policy3hip11hip_indexerINS_17iteration_mapping6DirectELNS_23kernel_sync_requirementE0EJNS_3hip11IndexGlobalILNS_9named_dimE1ELin1ELi0EEEEEEJNSL_ILl0ENSM_ILl32EEENSQ_ISS_LST_0EJNSV_ILSW_0ELin1ELi0EEEEEEJNSK_3ForILl2ENSQ_ISS_LST_0EJNSV_ILSW_2ELin1ELi0EEEEEEJNS12_ILl1ENSQ_ISS_LST_0EJNSV_ILSW_1ELi0ELin1EEEEEEJNS12_ILl0ENSQ_ISS_LST_0EJNSV_ILSW_0ELi0ELin1EEEEEEJNSK_6LambdaILl0EJEEEEEEEEEEEEEEEEEEEEENS0_9LoopTypesINSJ_IJvvvEEES1I_EEEEEEvT0_: ; @_ZN4RAJA8internal22HipKernelLauncherFixedILi256ENS0_8LoopDataIN4camp5tupleIJNS_4SpanINS_9Iterators16numeric_iteratorIiiPiEEiEESA_SA_EEENS4_IJEEENS3_9resources2v13HipEJZ4mainEUliiiE1_EEENS0_24HipStatementListExecutorISH_NS3_4listIJNS_9statement4TileILl1ENS_10tile_fixedILl8EEENS_6policy3hip11hip_indexerINS_17iteration_mapping6DirectELNS_23kernel_sync_requirementE0EJNS_3hip11IndexGlobalILNS_9named_dimE1ELin1ELi0EEEEEEJNSL_ILl0ENSM_ILl32EEENSQ_ISS_LST_0EJNSV_ILSW_0ELin1ELi0EEEEEEJNSK_3ForILl2ENSQ_ISS_LST_0EJNSV_ILSW_2ELin1ELi0EEEEEEJNS12_ILl1ENSQ_ISS_LST_0EJNSV_ILSW_1ELi0ELin1EEEEEEJNS12_ILl0ENSQ_ISS_LST_0EJNSV_ILSW_0ELi0ELin1EEEEEEJNSK_6LambdaILl0EJEEEEEEEEEEEEEEEEEEEEENS0_9LoopTypesINSJ_IJvvvEEES1I_EEEEEEvT0_
; %bb.0:
	s_bfe_u32 s2, ttmp6, 0x4000c
	s_bfe_u32 s4, ttmp6, 0x40010
	s_add_co_i32 s2, s2, 1
	s_and_b32 s3, ttmp6, 15
	s_mul_i32 s2, ttmp9, s2
	s_and_b32 s5, ttmp7, 0xffff
	s_add_co_i32 s4, s4, 1
	s_load_b128 s[8:11], s[0:1], 0x0
	s_add_co_i32 s3, s3, s2
	s_mul_i32 s2, s5, s4
	s_bfe_u32 s4, ttmp6, 0x40004
	s_getreg_b32 s6, hwreg(HW_REG_IB_STS2, 6, 4)
	s_add_co_i32 s4, s4, s2
	s_cmp_eq_u32 s6, 0
	v_bfe_u32 v1, v0, 10, 10
	s_cselect_b32 s2, s5, s4
	s_cselect_b32 s7, ttmp9, s3
	s_bfe_u32 s3, ttmp6, 0x40014
	s_lshr_b32 s12, ttmp7, 16
	s_add_co_i32 s3, s3, 1
	s_bfe_u32 s4, ttmp6, 0x40008
	s_mul_i32 s3, s12, s3
	v_and_b32_e32 v0, 0x3ff, v0
	s_add_co_i32 s3, s4, s3
	s_load_b64 s[4:5], s[0:1], 0x10
	s_cmp_eq_u32 s6, 0
	s_cselect_b32 s3, s12, s3
	s_wait_kmcnt 0x0
	s_sub_co_i32 s6, s11, s10
	s_lshl_b32 s2, s2, 3
	s_lshl_b32 s12, s7, 5
	s_cmp_lt_i32 s2, s6
	s_cselect_b32 s13, -1, 0
	s_add_co_i32 s6, s2, s10
	s_add_co_i32 s7, s12, s8
	;; [unrolled: 1-line block ×3, first 2 shown]
	s_sub_co_i32 s8, s9, s8
	s_min_i32 s2, s2, s11
	s_cmp_lt_i32 s12, s8
	s_cselect_b32 s8, -1, 0
	s_add_co_i32 s10, s7, 32
	s_and_b32 s8, s8, s13
	s_sub_co_i32 s5, s5, s4
	s_min_i32 s9, s10, s9
	s_cmp_lt_i32 s3, s5
	s_cselect_b32 s5, -1, 0
	s_sub_co_i32 s2, s2, s6
	s_and_b32 s5, s5, s8
	v_cmp_gt_i32_e32 vcc_lo, s2, v1
	s_sub_co_i32 s2, s9, s7
	s_delay_alu instid0(SALU_CYCLE_1) | instskip(SKIP_1) | instid1(SALU_CYCLE_1)
	v_cmp_gt_i32_e64 s2, s2, v0
	s_and_b32 s5, vcc_lo, s5
	s_and_b32 s2, s2, s5
	s_delay_alu instid0(SALU_CYCLE_1)
	s_and_saveexec_b32 s5, s2
	s_cbranch_execz .LBB1_2
; %bb.1:
	v_dual_add_nc_u32 v4, s7, v0 :: v_dual_add_nc_u32 v5, s6, v1
	s_add_co_i32 s2, s4, s3
	s_load_b96 s[4:6], s[0:1], 0x44
	s_delay_alu instid0(VALU_DEP_1) | instskip(NEXT) | instid1(VALU_DEP_2)
	v_cvt_f64_i32_e32 v[2:3], v4
	v_cvt_f64_i32_e32 v[0:1], v5
	s_wait_xcnt 0x0
	s_load_b64 s[0:1], s[0:1], 0x30
	s_delay_alu instid0(VALU_DEP_2) | instskip(NEXT) | instid1(VALU_DEP_1)
	v_mul_f64_e32 v[2:3], 0x3f1a36e2eb1c432d, v[2:3]
	v_mul_f64_e32 v[0:1], v[2:3], v[0:1]
	v_cvt_f64_i32_e32 v[2:3], s2
	s_wait_kmcnt 0x0
	s_mul_i32 s2, s6, s2
	s_delay_alu instid0(VALU_DEP_1) | instskip(SKIP_1) | instid1(VALU_DEP_1)
	v_mul_f64_e32 v[0:1], v[0:1], v[2:3]
	v_mad_u32 v2, s5, v5, s2
	v_mad_u32 v2, s4, v4, v2
	global_store_b64 v2, v[0:1], s[0:1] scale_offset
.LBB1_2:
	s_endpgm
	.section	.rodata,"a",@progbits
	.p2align	6, 0x0
	.amdhsa_kernel _ZN4RAJA8internal22HipKernelLauncherFixedILi256ENS0_8LoopDataIN4camp5tupleIJNS_4SpanINS_9Iterators16numeric_iteratorIiiPiEEiEESA_SA_EEENS4_IJEEENS3_9resources2v13HipEJZ4mainEUliiiE1_EEENS0_24HipStatementListExecutorISH_NS3_4listIJNS_9statement4TileILl1ENS_10tile_fixedILl8EEENS_6policy3hip11hip_indexerINS_17iteration_mapping6DirectELNS_23kernel_sync_requirementE0EJNS_3hip11IndexGlobalILNS_9named_dimE1ELin1ELi0EEEEEEJNSL_ILl0ENSM_ILl32EEENSQ_ISS_LST_0EJNSV_ILSW_0ELin1ELi0EEEEEEJNSK_3ForILl2ENSQ_ISS_LST_0EJNSV_ILSW_2ELin1ELi0EEEEEEJNS12_ILl1ENSQ_ISS_LST_0EJNSV_ILSW_1ELi0ELin1EEEEEEJNS12_ILl0ENSQ_ISS_LST_0EJNSV_ILSW_0ELi0ELin1EEEEEEJNSK_6LambdaILl0EJEEEEEEEEEEEEEEEEEEEEENS0_9LoopTypesINSJ_IJvvvEEES1I_EEEEEEvT0_
		.amdhsa_group_segment_fixed_size 0
		.amdhsa_private_segment_fixed_size 0
		.amdhsa_kernarg_size 128
		.amdhsa_user_sgpr_count 2
		.amdhsa_user_sgpr_dispatch_ptr 0
		.amdhsa_user_sgpr_queue_ptr 0
		.amdhsa_user_sgpr_kernarg_segment_ptr 1
		.amdhsa_user_sgpr_dispatch_id 0
		.amdhsa_user_sgpr_kernarg_preload_length 0
		.amdhsa_user_sgpr_kernarg_preload_offset 0
		.amdhsa_user_sgpr_private_segment_size 0
		.amdhsa_wavefront_size32 1
		.amdhsa_uses_dynamic_stack 0
		.amdhsa_enable_private_segment 0
		.amdhsa_system_sgpr_workgroup_id_x 1
		.amdhsa_system_sgpr_workgroup_id_y 1
		.amdhsa_system_sgpr_workgroup_id_z 1
		.amdhsa_system_sgpr_workgroup_info 0
		.amdhsa_system_vgpr_workitem_id 1
		.amdhsa_next_free_vgpr 6
		.amdhsa_next_free_sgpr 14
		.amdhsa_named_barrier_count 0
		.amdhsa_reserve_vcc 1
		.amdhsa_float_round_mode_32 0
		.amdhsa_float_round_mode_16_64 0
		.amdhsa_float_denorm_mode_32 3
		.amdhsa_float_denorm_mode_16_64 3
		.amdhsa_fp16_overflow 0
		.amdhsa_memory_ordered 1
		.amdhsa_forward_progress 1
		.amdhsa_inst_pref_size 4
		.amdhsa_round_robin_scheduling 0
		.amdhsa_exception_fp_ieee_invalid_op 0
		.amdhsa_exception_fp_denorm_src 0
		.amdhsa_exception_fp_ieee_div_zero 0
		.amdhsa_exception_fp_ieee_overflow 0
		.amdhsa_exception_fp_ieee_underflow 0
		.amdhsa_exception_fp_ieee_inexact 0
		.amdhsa_exception_int_div_zero 0
	.end_amdhsa_kernel
	.section	.text._ZN4RAJA8internal22HipKernelLauncherFixedILi256ENS0_8LoopDataIN4camp5tupleIJNS_4SpanINS_9Iterators16numeric_iteratorIiiPiEEiEESA_SA_EEENS4_IJEEENS3_9resources2v13HipEJZ4mainEUliiiE1_EEENS0_24HipStatementListExecutorISH_NS3_4listIJNS_9statement4TileILl1ENS_10tile_fixedILl8EEENS_6policy3hip11hip_indexerINS_17iteration_mapping6DirectELNS_23kernel_sync_requirementE0EJNS_3hip11IndexGlobalILNS_9named_dimE1ELin1ELi0EEEEEEJNSL_ILl0ENSM_ILl32EEENSQ_ISS_LST_0EJNSV_ILSW_0ELin1ELi0EEEEEEJNSK_3ForILl2ENSQ_ISS_LST_0EJNSV_ILSW_2ELin1ELi0EEEEEEJNS12_ILl1ENSQ_ISS_LST_0EJNSV_ILSW_1ELi0ELin1EEEEEEJNS12_ILl0ENSQ_ISS_LST_0EJNSV_ILSW_0ELi0ELin1EEEEEEJNSK_6LambdaILl0EJEEEEEEEEEEEEEEEEEEEEENS0_9LoopTypesINSJ_IJvvvEEES1I_EEEEEEvT0_,"axG",@progbits,_ZN4RAJA8internal22HipKernelLauncherFixedILi256ENS0_8LoopDataIN4camp5tupleIJNS_4SpanINS_9Iterators16numeric_iteratorIiiPiEEiEESA_SA_EEENS4_IJEEENS3_9resources2v13HipEJZ4mainEUliiiE1_EEENS0_24HipStatementListExecutorISH_NS3_4listIJNS_9statement4TileILl1ENS_10tile_fixedILl8EEENS_6policy3hip11hip_indexerINS_17iteration_mapping6DirectELNS_23kernel_sync_requirementE0EJNS_3hip11IndexGlobalILNS_9named_dimE1ELin1ELi0EEEEEEJNSL_ILl0ENSM_ILl32EEENSQ_ISS_LST_0EJNSV_ILSW_0ELin1ELi0EEEEEEJNSK_3ForILl2ENSQ_ISS_LST_0EJNSV_ILSW_2ELin1ELi0EEEEEEJNS12_ILl1ENSQ_ISS_LST_0EJNSV_ILSW_1ELi0ELin1EEEEEEJNS12_ILl0ENSQ_ISS_LST_0EJNSV_ILSW_0ELi0ELin1EEEEEEJNSK_6LambdaILl0EJEEEEEEEEEEEEEEEEEEEEENS0_9LoopTypesINSJ_IJvvvEEES1I_EEEEEEvT0_,comdat
.Lfunc_end1:
	.size	_ZN4RAJA8internal22HipKernelLauncherFixedILi256ENS0_8LoopDataIN4camp5tupleIJNS_4SpanINS_9Iterators16numeric_iteratorIiiPiEEiEESA_SA_EEENS4_IJEEENS3_9resources2v13HipEJZ4mainEUliiiE1_EEENS0_24HipStatementListExecutorISH_NS3_4listIJNS_9statement4TileILl1ENS_10tile_fixedILl8EEENS_6policy3hip11hip_indexerINS_17iteration_mapping6DirectELNS_23kernel_sync_requirementE0EJNS_3hip11IndexGlobalILNS_9named_dimE1ELin1ELi0EEEEEEJNSL_ILl0ENSM_ILl32EEENSQ_ISS_LST_0EJNSV_ILSW_0ELin1ELi0EEEEEEJNSK_3ForILl2ENSQ_ISS_LST_0EJNSV_ILSW_2ELin1ELi0EEEEEEJNS12_ILl1ENSQ_ISS_LST_0EJNSV_ILSW_1ELi0ELin1EEEEEEJNS12_ILl0ENSQ_ISS_LST_0EJNSV_ILSW_0ELi0ELin1EEEEEEJNSK_6LambdaILl0EJEEEEEEEEEEEEEEEEEEEEENS0_9LoopTypesINSJ_IJvvvEEES1I_EEEEEEvT0_, .Lfunc_end1-_ZN4RAJA8internal22HipKernelLauncherFixedILi256ENS0_8LoopDataIN4camp5tupleIJNS_4SpanINS_9Iterators16numeric_iteratorIiiPiEEiEESA_SA_EEENS4_IJEEENS3_9resources2v13HipEJZ4mainEUliiiE1_EEENS0_24HipStatementListExecutorISH_NS3_4listIJNS_9statement4TileILl1ENS_10tile_fixedILl8EEENS_6policy3hip11hip_indexerINS_17iteration_mapping6DirectELNS_23kernel_sync_requirementE0EJNS_3hip11IndexGlobalILNS_9named_dimE1ELin1ELi0EEEEEEJNSL_ILl0ENSM_ILl32EEENSQ_ISS_LST_0EJNSV_ILSW_0ELin1ELi0EEEEEEJNSK_3ForILl2ENSQ_ISS_LST_0EJNSV_ILSW_2ELin1ELi0EEEEEEJNS12_ILl1ENSQ_ISS_LST_0EJNSV_ILSW_1ELi0ELin1EEEEEEJNS12_ILl0ENSQ_ISS_LST_0EJNSV_ILSW_0ELi0ELin1EEEEEEJNSK_6LambdaILl0EJEEEEEEEEEEEEEEEEEEEEENS0_9LoopTypesINSJ_IJvvvEEES1I_EEEEEEvT0_
                                        ; -- End function
	.set _ZN4RAJA8internal22HipKernelLauncherFixedILi256ENS0_8LoopDataIN4camp5tupleIJNS_4SpanINS_9Iterators16numeric_iteratorIiiPiEEiEESA_SA_EEENS4_IJEEENS3_9resources2v13HipEJZ4mainEUliiiE1_EEENS0_24HipStatementListExecutorISH_NS3_4listIJNS_9statement4TileILl1ENS_10tile_fixedILl8EEENS_6policy3hip11hip_indexerINS_17iteration_mapping6DirectELNS_23kernel_sync_requirementE0EJNS_3hip11IndexGlobalILNS_9named_dimE1ELin1ELi0EEEEEEJNSL_ILl0ENSM_ILl32EEENSQ_ISS_LST_0EJNSV_ILSW_0ELin1ELi0EEEEEEJNSK_3ForILl2ENSQ_ISS_LST_0EJNSV_ILSW_2ELin1ELi0EEEEEEJNS12_ILl1ENSQ_ISS_LST_0EJNSV_ILSW_1ELi0ELin1EEEEEEJNS12_ILl0ENSQ_ISS_LST_0EJNSV_ILSW_0ELi0ELin1EEEEEEJNSK_6LambdaILl0EJEEEEEEEEEEEEEEEEEEEEENS0_9LoopTypesINSJ_IJvvvEEES1I_EEEEEEvT0_.num_vgpr, 6
	.set _ZN4RAJA8internal22HipKernelLauncherFixedILi256ENS0_8LoopDataIN4camp5tupleIJNS_4SpanINS_9Iterators16numeric_iteratorIiiPiEEiEESA_SA_EEENS4_IJEEENS3_9resources2v13HipEJZ4mainEUliiiE1_EEENS0_24HipStatementListExecutorISH_NS3_4listIJNS_9statement4TileILl1ENS_10tile_fixedILl8EEENS_6policy3hip11hip_indexerINS_17iteration_mapping6DirectELNS_23kernel_sync_requirementE0EJNS_3hip11IndexGlobalILNS_9named_dimE1ELin1ELi0EEEEEEJNSL_ILl0ENSM_ILl32EEENSQ_ISS_LST_0EJNSV_ILSW_0ELin1ELi0EEEEEEJNSK_3ForILl2ENSQ_ISS_LST_0EJNSV_ILSW_2ELin1ELi0EEEEEEJNS12_ILl1ENSQ_ISS_LST_0EJNSV_ILSW_1ELi0ELin1EEEEEEJNS12_ILl0ENSQ_ISS_LST_0EJNSV_ILSW_0ELi0ELin1EEEEEEJNSK_6LambdaILl0EJEEEEEEEEEEEEEEEEEEEEENS0_9LoopTypesINSJ_IJvvvEEES1I_EEEEEEvT0_.num_agpr, 0
	.set _ZN4RAJA8internal22HipKernelLauncherFixedILi256ENS0_8LoopDataIN4camp5tupleIJNS_4SpanINS_9Iterators16numeric_iteratorIiiPiEEiEESA_SA_EEENS4_IJEEENS3_9resources2v13HipEJZ4mainEUliiiE1_EEENS0_24HipStatementListExecutorISH_NS3_4listIJNS_9statement4TileILl1ENS_10tile_fixedILl8EEENS_6policy3hip11hip_indexerINS_17iteration_mapping6DirectELNS_23kernel_sync_requirementE0EJNS_3hip11IndexGlobalILNS_9named_dimE1ELin1ELi0EEEEEEJNSL_ILl0ENSM_ILl32EEENSQ_ISS_LST_0EJNSV_ILSW_0ELin1ELi0EEEEEEJNSK_3ForILl2ENSQ_ISS_LST_0EJNSV_ILSW_2ELin1ELi0EEEEEEJNS12_ILl1ENSQ_ISS_LST_0EJNSV_ILSW_1ELi0ELin1EEEEEEJNS12_ILl0ENSQ_ISS_LST_0EJNSV_ILSW_0ELi0ELin1EEEEEEJNSK_6LambdaILl0EJEEEEEEEEEEEEEEEEEEEEENS0_9LoopTypesINSJ_IJvvvEEES1I_EEEEEEvT0_.numbered_sgpr, 14
	.set _ZN4RAJA8internal22HipKernelLauncherFixedILi256ENS0_8LoopDataIN4camp5tupleIJNS_4SpanINS_9Iterators16numeric_iteratorIiiPiEEiEESA_SA_EEENS4_IJEEENS3_9resources2v13HipEJZ4mainEUliiiE1_EEENS0_24HipStatementListExecutorISH_NS3_4listIJNS_9statement4TileILl1ENS_10tile_fixedILl8EEENS_6policy3hip11hip_indexerINS_17iteration_mapping6DirectELNS_23kernel_sync_requirementE0EJNS_3hip11IndexGlobalILNS_9named_dimE1ELin1ELi0EEEEEEJNSL_ILl0ENSM_ILl32EEENSQ_ISS_LST_0EJNSV_ILSW_0ELin1ELi0EEEEEEJNSK_3ForILl2ENSQ_ISS_LST_0EJNSV_ILSW_2ELin1ELi0EEEEEEJNS12_ILl1ENSQ_ISS_LST_0EJNSV_ILSW_1ELi0ELin1EEEEEEJNS12_ILl0ENSQ_ISS_LST_0EJNSV_ILSW_0ELi0ELin1EEEEEEJNSK_6LambdaILl0EJEEEEEEEEEEEEEEEEEEEEENS0_9LoopTypesINSJ_IJvvvEEES1I_EEEEEEvT0_.num_named_barrier, 0
	.set _ZN4RAJA8internal22HipKernelLauncherFixedILi256ENS0_8LoopDataIN4camp5tupleIJNS_4SpanINS_9Iterators16numeric_iteratorIiiPiEEiEESA_SA_EEENS4_IJEEENS3_9resources2v13HipEJZ4mainEUliiiE1_EEENS0_24HipStatementListExecutorISH_NS3_4listIJNS_9statement4TileILl1ENS_10tile_fixedILl8EEENS_6policy3hip11hip_indexerINS_17iteration_mapping6DirectELNS_23kernel_sync_requirementE0EJNS_3hip11IndexGlobalILNS_9named_dimE1ELin1ELi0EEEEEEJNSL_ILl0ENSM_ILl32EEENSQ_ISS_LST_0EJNSV_ILSW_0ELin1ELi0EEEEEEJNSK_3ForILl2ENSQ_ISS_LST_0EJNSV_ILSW_2ELin1ELi0EEEEEEJNS12_ILl1ENSQ_ISS_LST_0EJNSV_ILSW_1ELi0ELin1EEEEEEJNS12_ILl0ENSQ_ISS_LST_0EJNSV_ILSW_0ELi0ELin1EEEEEEJNSK_6LambdaILl0EJEEEEEEEEEEEEEEEEEEEEENS0_9LoopTypesINSJ_IJvvvEEES1I_EEEEEEvT0_.private_seg_size, 0
	.set _ZN4RAJA8internal22HipKernelLauncherFixedILi256ENS0_8LoopDataIN4camp5tupleIJNS_4SpanINS_9Iterators16numeric_iteratorIiiPiEEiEESA_SA_EEENS4_IJEEENS3_9resources2v13HipEJZ4mainEUliiiE1_EEENS0_24HipStatementListExecutorISH_NS3_4listIJNS_9statement4TileILl1ENS_10tile_fixedILl8EEENS_6policy3hip11hip_indexerINS_17iteration_mapping6DirectELNS_23kernel_sync_requirementE0EJNS_3hip11IndexGlobalILNS_9named_dimE1ELin1ELi0EEEEEEJNSL_ILl0ENSM_ILl32EEENSQ_ISS_LST_0EJNSV_ILSW_0ELin1ELi0EEEEEEJNSK_3ForILl2ENSQ_ISS_LST_0EJNSV_ILSW_2ELin1ELi0EEEEEEJNS12_ILl1ENSQ_ISS_LST_0EJNSV_ILSW_1ELi0ELin1EEEEEEJNS12_ILl0ENSQ_ISS_LST_0EJNSV_ILSW_0ELi0ELin1EEEEEEJNSK_6LambdaILl0EJEEEEEEEEEEEEEEEEEEEEENS0_9LoopTypesINSJ_IJvvvEEES1I_EEEEEEvT0_.uses_vcc, 1
	.set _ZN4RAJA8internal22HipKernelLauncherFixedILi256ENS0_8LoopDataIN4camp5tupleIJNS_4SpanINS_9Iterators16numeric_iteratorIiiPiEEiEESA_SA_EEENS4_IJEEENS3_9resources2v13HipEJZ4mainEUliiiE1_EEENS0_24HipStatementListExecutorISH_NS3_4listIJNS_9statement4TileILl1ENS_10tile_fixedILl8EEENS_6policy3hip11hip_indexerINS_17iteration_mapping6DirectELNS_23kernel_sync_requirementE0EJNS_3hip11IndexGlobalILNS_9named_dimE1ELin1ELi0EEEEEEJNSL_ILl0ENSM_ILl32EEENSQ_ISS_LST_0EJNSV_ILSW_0ELin1ELi0EEEEEEJNSK_3ForILl2ENSQ_ISS_LST_0EJNSV_ILSW_2ELin1ELi0EEEEEEJNS12_ILl1ENSQ_ISS_LST_0EJNSV_ILSW_1ELi0ELin1EEEEEEJNS12_ILl0ENSQ_ISS_LST_0EJNSV_ILSW_0ELi0ELin1EEEEEEJNSK_6LambdaILl0EJEEEEEEEEEEEEEEEEEEEEENS0_9LoopTypesINSJ_IJvvvEEES1I_EEEEEEvT0_.uses_flat_scratch, 0
	.set _ZN4RAJA8internal22HipKernelLauncherFixedILi256ENS0_8LoopDataIN4camp5tupleIJNS_4SpanINS_9Iterators16numeric_iteratorIiiPiEEiEESA_SA_EEENS4_IJEEENS3_9resources2v13HipEJZ4mainEUliiiE1_EEENS0_24HipStatementListExecutorISH_NS3_4listIJNS_9statement4TileILl1ENS_10tile_fixedILl8EEENS_6policy3hip11hip_indexerINS_17iteration_mapping6DirectELNS_23kernel_sync_requirementE0EJNS_3hip11IndexGlobalILNS_9named_dimE1ELin1ELi0EEEEEEJNSL_ILl0ENSM_ILl32EEENSQ_ISS_LST_0EJNSV_ILSW_0ELin1ELi0EEEEEEJNSK_3ForILl2ENSQ_ISS_LST_0EJNSV_ILSW_2ELin1ELi0EEEEEEJNS12_ILl1ENSQ_ISS_LST_0EJNSV_ILSW_1ELi0ELin1EEEEEEJNS12_ILl0ENSQ_ISS_LST_0EJNSV_ILSW_0ELi0ELin1EEEEEEJNSK_6LambdaILl0EJEEEEEEEEEEEEEEEEEEEEENS0_9LoopTypesINSJ_IJvvvEEES1I_EEEEEEvT0_.has_dyn_sized_stack, 0
	.set _ZN4RAJA8internal22HipKernelLauncherFixedILi256ENS0_8LoopDataIN4camp5tupleIJNS_4SpanINS_9Iterators16numeric_iteratorIiiPiEEiEESA_SA_EEENS4_IJEEENS3_9resources2v13HipEJZ4mainEUliiiE1_EEENS0_24HipStatementListExecutorISH_NS3_4listIJNS_9statement4TileILl1ENS_10tile_fixedILl8EEENS_6policy3hip11hip_indexerINS_17iteration_mapping6DirectELNS_23kernel_sync_requirementE0EJNS_3hip11IndexGlobalILNS_9named_dimE1ELin1ELi0EEEEEEJNSL_ILl0ENSM_ILl32EEENSQ_ISS_LST_0EJNSV_ILSW_0ELin1ELi0EEEEEEJNSK_3ForILl2ENSQ_ISS_LST_0EJNSV_ILSW_2ELin1ELi0EEEEEEJNS12_ILl1ENSQ_ISS_LST_0EJNSV_ILSW_1ELi0ELin1EEEEEEJNS12_ILl0ENSQ_ISS_LST_0EJNSV_ILSW_0ELi0ELin1EEEEEEJNSK_6LambdaILl0EJEEEEEEEEEEEEEEEEEEEEENS0_9LoopTypesINSJ_IJvvvEEES1I_EEEEEEvT0_.has_recursion, 0
	.set _ZN4RAJA8internal22HipKernelLauncherFixedILi256ENS0_8LoopDataIN4camp5tupleIJNS_4SpanINS_9Iterators16numeric_iteratorIiiPiEEiEESA_SA_EEENS4_IJEEENS3_9resources2v13HipEJZ4mainEUliiiE1_EEENS0_24HipStatementListExecutorISH_NS3_4listIJNS_9statement4TileILl1ENS_10tile_fixedILl8EEENS_6policy3hip11hip_indexerINS_17iteration_mapping6DirectELNS_23kernel_sync_requirementE0EJNS_3hip11IndexGlobalILNS_9named_dimE1ELin1ELi0EEEEEEJNSL_ILl0ENSM_ILl32EEENSQ_ISS_LST_0EJNSV_ILSW_0ELin1ELi0EEEEEEJNSK_3ForILl2ENSQ_ISS_LST_0EJNSV_ILSW_2ELin1ELi0EEEEEEJNS12_ILl1ENSQ_ISS_LST_0EJNSV_ILSW_1ELi0ELin1EEEEEEJNS12_ILl0ENSQ_ISS_LST_0EJNSV_ILSW_0ELi0ELin1EEEEEEJNSK_6LambdaILl0EJEEEEEEEEEEEEEEEEEEEEENS0_9LoopTypesINSJ_IJvvvEEES1I_EEEEEEvT0_.has_indirect_call, 0
	.section	.AMDGPU.csdata,"",@progbits
; Kernel info:
; codeLenInByte = 392
; TotalNumSgprs: 16
; NumVgprs: 6
; ScratchSize: 0
; MemoryBound: 0
; FloatMode: 240
; IeeeMode: 1
; LDSByteSize: 0 bytes/workgroup (compile time only)
; SGPRBlocks: 0
; VGPRBlocks: 0
; NumSGPRsForWavesPerEU: 16
; NumVGPRsForWavesPerEU: 6
; NamedBarCnt: 0
; Occupancy: 16
; WaveLimiterHint : 0
; COMPUTE_PGM_RSRC2:SCRATCH_EN: 0
; COMPUTE_PGM_RSRC2:USER_SGPR: 2
; COMPUTE_PGM_RSRC2:TRAP_HANDLER: 0
; COMPUTE_PGM_RSRC2:TGID_X_EN: 1
; COMPUTE_PGM_RSRC2:TGID_Y_EN: 1
; COMPUTE_PGM_RSRC2:TGID_Z_EN: 1
; COMPUTE_PGM_RSRC2:TIDIG_COMP_CNT: 1
	.section	.AMDGPU.gpr_maximums,"",@progbits
	.set amdgpu.max_num_vgpr, 0
	.set amdgpu.max_num_agpr, 0
	.set amdgpu.max_num_sgpr, 0
	.section	.AMDGPU.csdata,"",@progbits
	.type	__hip_cuid_975e37fa695894ea,@object ; @__hip_cuid_975e37fa695894ea
	.section	.bss,"aw",@nobits
	.globl	__hip_cuid_975e37fa695894ea
__hip_cuid_975e37fa695894ea:
	.byte	0                               ; 0x0
	.size	__hip_cuid_975e37fa695894ea, 1

	.ident	"AMD clang version 22.0.0git (https://github.com/RadeonOpenCompute/llvm-project roc-7.2.4 26084 f58b06dce1f9c15707c5f808fd002e18c2accf7e)"
	.section	".note.GNU-stack","",@progbits
	.addrsig
	.addrsig_sym __hip_cuid_975e37fa695894ea
	.amdgpu_metadata
---
amdhsa.kernels:
  - .args:
      - .offset:         0
        .size:           128
        .value_kind:     by_value
      - .offset:         128
        .size:           4
        .value_kind:     hidden_block_count_x
      - .offset:         132
        .size:           4
        .value_kind:     hidden_block_count_y
      - .offset:         136
        .size:           4
        .value_kind:     hidden_block_count_z
      - .offset:         140
        .size:           2
        .value_kind:     hidden_group_size_x
      - .offset:         142
        .size:           2
        .value_kind:     hidden_group_size_y
      - .offset:         144
        .size:           2
        .value_kind:     hidden_group_size_z
      - .offset:         146
        .size:           2
        .value_kind:     hidden_remainder_x
      - .offset:         148
        .size:           2
        .value_kind:     hidden_remainder_y
      - .offset:         150
        .size:           2
        .value_kind:     hidden_remainder_z
      - .offset:         168
        .size:           8
        .value_kind:     hidden_global_offset_x
      - .offset:         176
        .size:           8
        .value_kind:     hidden_global_offset_y
      - .offset:         184
        .size:           8
        .value_kind:     hidden_global_offset_z
      - .offset:         192
        .size:           2
        .value_kind:     hidden_grid_dims
    .group_segment_fixed_size: 0
    .kernarg_segment_align: 8
    .kernarg_segment_size: 384
    .language:       OpenCL C
    .language_version:
      - 2
      - 0
    .max_flat_workgroup_size: 1024
    .name:           _ZN4RAJA8internal22HipKernelLauncherFixedILi1024ENS0_8LoopDataIN4camp5tupleIJNS_4SpanINS_9Iterators16numeric_iteratorIiiPiEEiEESA_SA_EEENS4_IJEEENS3_9resources2v13HipEJZ4mainEUliiiE0_EEENS0_24HipStatementListExecutorISH_NS3_4listIJNS_9statement3ForILl2ENS_6policy3hip11hip_indexerINS_17iteration_mapping11StridedLoopILm0EEELNS_23kernel_sync_requirementE0EJNS_3hip11IndexGlobalILNS_9named_dimE2ELi0ELin1EEEEEEJNSL_ILl1ENSO_ISR_LSS_0EJNSU_ILSV_1ELi0ELin1EEEEEEJNSL_ILl0ENSO_ISR_LSS_0EJNSU_ILSV_0ELi0ELin1EEEEEEJNSK_6LambdaILl0EJEEEEEEEEEEEEEEENS0_9LoopTypesINSJ_IJvvvEEES19_EEEEEEvT0_
    .private_segment_fixed_size: 0
    .sgpr_count:     26
    .sgpr_spill_count: 0
    .symbol:         _ZN4RAJA8internal22HipKernelLauncherFixedILi1024ENS0_8LoopDataIN4camp5tupleIJNS_4SpanINS_9Iterators16numeric_iteratorIiiPiEEiEESA_SA_EEENS4_IJEEENS3_9resources2v13HipEJZ4mainEUliiiE0_EEENS0_24HipStatementListExecutorISH_NS3_4listIJNS_9statement3ForILl2ENS_6policy3hip11hip_indexerINS_17iteration_mapping11StridedLoopILm0EEELNS_23kernel_sync_requirementE0EJNS_3hip11IndexGlobalILNS_9named_dimE2ELi0ELin1EEEEEEJNSL_ILl1ENSO_ISR_LSS_0EJNSU_ILSV_1ELi0ELin1EEEEEEJNSL_ILl0ENSO_ISR_LSS_0EJNSU_ILSV_0ELi0ELin1EEEEEEJNSK_6LambdaILl0EJEEEEEEEEEEEEEEENS0_9LoopTypesINSJ_IJvvvEEES19_EEEEEEvT0_.kd
    .uniform_work_group_size: 1
    .uses_dynamic_stack: false
    .vgpr_count:     14
    .vgpr_spill_count: 0
    .wavefront_size: 32
  - .args:
      - .offset:         0
        .size:           128
        .value_kind:     by_value
    .group_segment_fixed_size: 0
    .kernarg_segment_align: 8
    .kernarg_segment_size: 128
    .language:       OpenCL C
    .language_version:
      - 2
      - 0
    .max_flat_workgroup_size: 256
    .name:           _ZN4RAJA8internal22HipKernelLauncherFixedILi256ENS0_8LoopDataIN4camp5tupleIJNS_4SpanINS_9Iterators16numeric_iteratorIiiPiEEiEESA_SA_EEENS4_IJEEENS3_9resources2v13HipEJZ4mainEUliiiE1_EEENS0_24HipStatementListExecutorISH_NS3_4listIJNS_9statement4TileILl1ENS_10tile_fixedILl8EEENS_6policy3hip11hip_indexerINS_17iteration_mapping6DirectELNS_23kernel_sync_requirementE0EJNS_3hip11IndexGlobalILNS_9named_dimE1ELin1ELi0EEEEEEJNSL_ILl0ENSM_ILl32EEENSQ_ISS_LST_0EJNSV_ILSW_0ELin1ELi0EEEEEEJNSK_3ForILl2ENSQ_ISS_LST_0EJNSV_ILSW_2ELin1ELi0EEEEEEJNS12_ILl1ENSQ_ISS_LST_0EJNSV_ILSW_1ELi0ELin1EEEEEEJNS12_ILl0ENSQ_ISS_LST_0EJNSV_ILSW_0ELi0ELin1EEEEEEJNSK_6LambdaILl0EJEEEEEEEEEEEEEEEEEEEEENS0_9LoopTypesINSJ_IJvvvEEES1I_EEEEEEvT0_
    .private_segment_fixed_size: 0
    .sgpr_count:     16
    .sgpr_spill_count: 0
    .symbol:         _ZN4RAJA8internal22HipKernelLauncherFixedILi256ENS0_8LoopDataIN4camp5tupleIJNS_4SpanINS_9Iterators16numeric_iteratorIiiPiEEiEESA_SA_EEENS4_IJEEENS3_9resources2v13HipEJZ4mainEUliiiE1_EEENS0_24HipStatementListExecutorISH_NS3_4listIJNS_9statement4TileILl1ENS_10tile_fixedILl8EEENS_6policy3hip11hip_indexerINS_17iteration_mapping6DirectELNS_23kernel_sync_requirementE0EJNS_3hip11IndexGlobalILNS_9named_dimE1ELin1ELi0EEEEEEJNSL_ILl0ENSM_ILl32EEENSQ_ISS_LST_0EJNSV_ILSW_0ELin1ELi0EEEEEEJNSK_3ForILl2ENSQ_ISS_LST_0EJNSV_ILSW_2ELin1ELi0EEEEEEJNS12_ILl1ENSQ_ISS_LST_0EJNSV_ILSW_1ELi0ELin1EEEEEEJNS12_ILl0ENSQ_ISS_LST_0EJNSV_ILSW_0ELi0ELin1EEEEEEJNSK_6LambdaILl0EJEEEEEEEEEEEEEEEEEEEEENS0_9LoopTypesINSJ_IJvvvEEES1I_EEEEEEvT0_.kd
    .uniform_work_group_size: 1
    .uses_dynamic_stack: false
    .vgpr_count:     6
    .vgpr_spill_count: 0
    .wavefront_size: 32
amdhsa.target:   amdgcn-amd-amdhsa--gfx1250
amdhsa.version:
  - 1
  - 2
...

	.end_amdgpu_metadata
